;; amdgpu-corpus repo=ROCm/rocFFT kind=compiled arch=gfx1030 opt=O3
	.text
	.amdgcn_target "amdgcn-amd-amdhsa--gfx1030"
	.amdhsa_code_object_version 6
	.protected	fft_rtc_back_len1089_factors_3_11_3_11_wgs_121_tpt_121_dp_op_CI_CI_unitstride_sbrr_dirReg ; -- Begin function fft_rtc_back_len1089_factors_3_11_3_11_wgs_121_tpt_121_dp_op_CI_CI_unitstride_sbrr_dirReg
	.globl	fft_rtc_back_len1089_factors_3_11_3_11_wgs_121_tpt_121_dp_op_CI_CI_unitstride_sbrr_dirReg
	.p2align	8
	.type	fft_rtc_back_len1089_factors_3_11_3_11_wgs_121_tpt_121_dp_op_CI_CI_unitstride_sbrr_dirReg,@function
fft_rtc_back_len1089_factors_3_11_3_11_wgs_121_tpt_121_dp_op_CI_CI_unitstride_sbrr_dirReg: ; @fft_rtc_back_len1089_factors_3_11_3_11_wgs_121_tpt_121_dp_op_CI_CI_unitstride_sbrr_dirReg
; %bb.0:
	s_clause 0x2
	s_load_dwordx4 s[12:15], s[4:5], 0x0
	s_load_dwordx4 s[8:11], s[4:5], 0x58
	;; [unrolled: 1-line block ×3, first 2 shown]
	v_mul_u32_u24_e32 v2, 0x21e, v0
	v_mov_b32_e32 v1, 0
	v_mov_b32_e32 v4, 0
	;; [unrolled: 1-line block ×3, first 2 shown]
	v_add_nc_u32_sdwa v6, s6, v2 dst_sel:DWORD dst_unused:UNUSED_PAD src0_sel:DWORD src1_sel:WORD_1
	v_mov_b32_e32 v7, v1
	s_waitcnt lgkmcnt(0)
	v_cmp_lt_u64_e64 s0, s[14:15], 2
	s_and_b32 vcc_lo, exec_lo, s0
	s_cbranch_vccnz .LBB0_8
; %bb.1:
	s_load_dwordx2 s[0:1], s[4:5], 0x10
	v_mov_b32_e32 v4, 0
	v_mov_b32_e32 v5, 0
	s_add_u32 s2, s18, 8
	s_addc_u32 s3, s19, 0
	s_add_u32 s6, s16, 8
	s_addc_u32 s7, s17, 0
	v_mov_b32_e32 v85, v5
	v_mov_b32_e32 v84, v4
	s_mov_b64 s[22:23], 1
	s_waitcnt lgkmcnt(0)
	s_add_u32 s20, s0, 8
	s_addc_u32 s21, s1, 0
.LBB0_2:                                ; =>This Inner Loop Header: Depth=1
	s_load_dwordx2 s[24:25], s[20:21], 0x0
                                        ; implicit-def: $vgpr87_vgpr88
	s_mov_b32 s0, exec_lo
	s_waitcnt lgkmcnt(0)
	v_or_b32_e32 v2, s25, v7
	v_cmpx_ne_u64_e32 0, v[1:2]
	s_xor_b32 s1, exec_lo, s0
	s_cbranch_execz .LBB0_4
; %bb.3:                                ;   in Loop: Header=BB0_2 Depth=1
	v_cvt_f32_u32_e32 v2, s24
	v_cvt_f32_u32_e32 v3, s25
	s_sub_u32 s0, 0, s24
	s_subb_u32 s26, 0, s25
	v_fmac_f32_e32 v2, 0x4f800000, v3
	v_rcp_f32_e32 v2, v2
	v_mul_f32_e32 v2, 0x5f7ffffc, v2
	v_mul_f32_e32 v3, 0x2f800000, v2
	v_trunc_f32_e32 v3, v3
	v_fmac_f32_e32 v2, 0xcf800000, v3
	v_cvt_u32_f32_e32 v3, v3
	v_cvt_u32_f32_e32 v2, v2
	v_mul_lo_u32 v8, s0, v3
	v_mul_hi_u32 v9, s0, v2
	v_mul_lo_u32 v10, s26, v2
	v_add_nc_u32_e32 v8, v9, v8
	v_mul_lo_u32 v9, s0, v2
	v_add_nc_u32_e32 v8, v8, v10
	v_mul_hi_u32 v10, v2, v9
	v_mul_lo_u32 v11, v2, v8
	v_mul_hi_u32 v12, v2, v8
	v_mul_hi_u32 v13, v3, v9
	v_mul_lo_u32 v9, v3, v9
	v_mul_hi_u32 v14, v3, v8
	v_mul_lo_u32 v8, v3, v8
	v_add_co_u32 v10, vcc_lo, v10, v11
	v_add_co_ci_u32_e32 v11, vcc_lo, 0, v12, vcc_lo
	v_add_co_u32 v9, vcc_lo, v10, v9
	v_add_co_ci_u32_e32 v9, vcc_lo, v11, v13, vcc_lo
	v_add_co_ci_u32_e32 v10, vcc_lo, 0, v14, vcc_lo
	v_add_co_u32 v8, vcc_lo, v9, v8
	v_add_co_ci_u32_e32 v9, vcc_lo, 0, v10, vcc_lo
	v_add_co_u32 v2, vcc_lo, v2, v8
	v_add_co_ci_u32_e32 v3, vcc_lo, v3, v9, vcc_lo
	v_mul_hi_u32 v8, s0, v2
	v_mul_lo_u32 v10, s26, v2
	v_mul_lo_u32 v9, s0, v3
	v_add_nc_u32_e32 v8, v8, v9
	v_mul_lo_u32 v9, s0, v2
	v_add_nc_u32_e32 v8, v8, v10
	v_mul_hi_u32 v10, v2, v9
	v_mul_lo_u32 v11, v2, v8
	v_mul_hi_u32 v12, v2, v8
	v_mul_hi_u32 v13, v3, v9
	v_mul_lo_u32 v9, v3, v9
	v_mul_hi_u32 v14, v3, v8
	v_mul_lo_u32 v8, v3, v8
	v_add_co_u32 v10, vcc_lo, v10, v11
	v_add_co_ci_u32_e32 v11, vcc_lo, 0, v12, vcc_lo
	v_add_co_u32 v9, vcc_lo, v10, v9
	v_add_co_ci_u32_e32 v9, vcc_lo, v11, v13, vcc_lo
	v_add_co_ci_u32_e32 v10, vcc_lo, 0, v14, vcc_lo
	v_add_co_u32 v8, vcc_lo, v9, v8
	v_add_co_ci_u32_e32 v9, vcc_lo, 0, v10, vcc_lo
	v_add_co_u32 v8, vcc_lo, v2, v8
	v_add_co_ci_u32_e32 v10, vcc_lo, v3, v9, vcc_lo
	v_mul_hi_u32 v12, v6, v8
	v_mad_u64_u32 v[8:9], null, v7, v8, 0
	v_mad_u64_u32 v[2:3], null, v6, v10, 0
	;; [unrolled: 1-line block ×3, first 2 shown]
	v_add_co_u32 v2, vcc_lo, v12, v2
	v_add_co_ci_u32_e32 v3, vcc_lo, 0, v3, vcc_lo
	v_add_co_u32 v2, vcc_lo, v2, v8
	v_add_co_ci_u32_e32 v2, vcc_lo, v3, v9, vcc_lo
	v_add_co_ci_u32_e32 v3, vcc_lo, 0, v11, vcc_lo
	v_add_co_u32 v8, vcc_lo, v2, v10
	v_add_co_ci_u32_e32 v9, vcc_lo, 0, v3, vcc_lo
	v_mul_lo_u32 v10, s25, v8
	v_mad_u64_u32 v[2:3], null, s24, v8, 0
	v_mul_lo_u32 v11, s24, v9
	v_sub_co_u32 v2, vcc_lo, v6, v2
	v_add3_u32 v3, v3, v11, v10
	v_sub_nc_u32_e32 v10, v7, v3
	v_subrev_co_ci_u32_e64 v10, s0, s25, v10, vcc_lo
	v_add_co_u32 v11, s0, v8, 2
	v_add_co_ci_u32_e64 v12, s0, 0, v9, s0
	v_sub_co_u32 v13, s0, v2, s24
	v_sub_co_ci_u32_e32 v3, vcc_lo, v7, v3, vcc_lo
	v_subrev_co_ci_u32_e64 v10, s0, 0, v10, s0
	v_cmp_le_u32_e32 vcc_lo, s24, v13
	v_cmp_eq_u32_e64 s0, s25, v3
	v_cndmask_b32_e64 v13, 0, -1, vcc_lo
	v_cmp_le_u32_e32 vcc_lo, s25, v10
	v_cndmask_b32_e64 v14, 0, -1, vcc_lo
	v_cmp_le_u32_e32 vcc_lo, s24, v2
	;; [unrolled: 2-line block ×3, first 2 shown]
	v_cndmask_b32_e64 v15, 0, -1, vcc_lo
	v_cmp_eq_u32_e32 vcc_lo, s25, v10
	v_cndmask_b32_e64 v2, v15, v2, s0
	v_cndmask_b32_e32 v10, v14, v13, vcc_lo
	v_add_co_u32 v13, vcc_lo, v8, 1
	v_add_co_ci_u32_e32 v14, vcc_lo, 0, v9, vcc_lo
	v_cmp_ne_u32_e32 vcc_lo, 0, v10
	v_cndmask_b32_e32 v3, v14, v12, vcc_lo
	v_cndmask_b32_e32 v10, v13, v11, vcc_lo
	v_cmp_ne_u32_e32 vcc_lo, 0, v2
	v_cndmask_b32_e32 v88, v9, v3, vcc_lo
	v_cndmask_b32_e32 v87, v8, v10, vcc_lo
.LBB0_4:                                ;   in Loop: Header=BB0_2 Depth=1
	s_andn2_saveexec_b32 s0, s1
	s_cbranch_execz .LBB0_6
; %bb.5:                                ;   in Loop: Header=BB0_2 Depth=1
	v_cvt_f32_u32_e32 v2, s24
	s_sub_i32 s1, 0, s24
	v_mov_b32_e32 v88, v1
	v_rcp_iflag_f32_e32 v2, v2
	v_mul_f32_e32 v2, 0x4f7ffffe, v2
	v_cvt_u32_f32_e32 v2, v2
	v_mul_lo_u32 v3, s1, v2
	v_mul_hi_u32 v3, v2, v3
	v_add_nc_u32_e32 v2, v2, v3
	v_mul_hi_u32 v2, v6, v2
	v_mul_lo_u32 v3, v2, s24
	v_add_nc_u32_e32 v8, 1, v2
	v_sub_nc_u32_e32 v3, v6, v3
	v_subrev_nc_u32_e32 v9, s24, v3
	v_cmp_le_u32_e32 vcc_lo, s24, v3
	v_cndmask_b32_e32 v3, v3, v9, vcc_lo
	v_cndmask_b32_e32 v2, v2, v8, vcc_lo
	v_cmp_le_u32_e32 vcc_lo, s24, v3
	v_add_nc_u32_e32 v8, 1, v2
	v_cndmask_b32_e32 v87, v2, v8, vcc_lo
.LBB0_6:                                ;   in Loop: Header=BB0_2 Depth=1
	s_or_b32 exec_lo, exec_lo, s0
	v_mul_lo_u32 v8, v88, s24
	v_mul_lo_u32 v9, v87, s25
	s_load_dwordx2 s[0:1], s[6:7], 0x0
	v_mad_u64_u32 v[2:3], null, v87, s24, 0
	s_load_dwordx2 s[24:25], s[2:3], 0x0
	s_add_u32 s22, s22, 1
	s_addc_u32 s23, s23, 0
	s_add_u32 s2, s2, 8
	s_addc_u32 s3, s3, 0
	s_add_u32 s6, s6, 8
	v_add3_u32 v3, v3, v9, v8
	v_sub_co_u32 v2, vcc_lo, v6, v2
	s_addc_u32 s7, s7, 0
	s_add_u32 s20, s20, 8
	v_sub_co_ci_u32_e32 v3, vcc_lo, v7, v3, vcc_lo
	s_addc_u32 s21, s21, 0
	s_waitcnt lgkmcnt(0)
	v_mul_lo_u32 v6, s0, v3
	v_mul_lo_u32 v7, s1, v2
	v_mad_u64_u32 v[4:5], null, s0, v2, v[4:5]
	v_mul_lo_u32 v3, s24, v3
	v_mul_lo_u32 v8, s25, v2
	v_mad_u64_u32 v[84:85], null, s24, v2, v[84:85]
	v_cmp_ge_u64_e64 s0, s[22:23], s[14:15]
	v_add3_u32 v5, v7, v5, v6
	v_add3_u32 v85, v8, v85, v3
	s_and_b32 vcc_lo, exec_lo, s0
	s_cbranch_vccnz .LBB0_9
; %bb.7:                                ;   in Loop: Header=BB0_2 Depth=1
	v_mov_b32_e32 v6, v87
	v_mov_b32_e32 v7, v88
	s_branch .LBB0_2
.LBB0_8:
	v_mov_b32_e32 v85, v5
	v_mov_b32_e32 v88, v7
	;; [unrolled: 1-line block ×4, first 2 shown]
.LBB0_9:
	s_load_dwordx2 s[0:1], s[4:5], 0x28
	v_mul_hi_u32 v1, 0x21d9eae, v0
	s_lshl_b64 s[4:5], s[14:15], 3
                                        ; implicit-def: $vgpr86
	s_add_u32 s2, s18, s4
	s_addc_u32 s3, s19, s5
	s_waitcnt lgkmcnt(0)
	v_cmp_gt_u64_e32 vcc_lo, s[0:1], v[87:88]
	v_cmp_le_u64_e64 s0, s[0:1], v[87:88]
	s_and_saveexec_b32 s1, s0
	s_xor_b32 s0, exec_lo, s1
; %bb.10:
	v_mul_u32_u24_e32 v1, 0x79, v1
                                        ; implicit-def: $vgpr4_vgpr5
	v_sub_nc_u32_e32 v86, v0, v1
                                        ; implicit-def: $vgpr1
                                        ; implicit-def: $vgpr0
; %bb.11:
	s_or_saveexec_b32 s1, s0
                                        ; implicit-def: $vgpr22_vgpr23
                                        ; implicit-def: $vgpr26_vgpr27
                                        ; implicit-def: $vgpr18_vgpr19
                                        ; implicit-def: $vgpr14_vgpr15
                                        ; implicit-def: $vgpr30_vgpr31
                                        ; implicit-def: $vgpr6_vgpr7
                                        ; implicit-def: $vgpr10_vgpr11
                                        ; implicit-def: $vgpr34_vgpr35
                                        ; implicit-def: $vgpr2_vgpr3
	s_xor_b32 exec_lo, exec_lo, s1
	s_cbranch_execz .LBB0_13
; %bb.12:
	s_add_u32 s4, s16, s4
	s_addc_u32 s5, s17, s5
	s_load_dwordx2 s[4:5], s[4:5], 0x0
	s_waitcnt lgkmcnt(0)
	v_mul_lo_u32 v6, s5, v87
	v_mul_lo_u32 v7, s4, v88
	v_mad_u64_u32 v[2:3], null, s4, v87, 0
	v_add3_u32 v3, v3, v7, v6
	v_mul_u32_u24_e32 v6, 0x79, v1
	v_lshlrev_b64 v[1:2], 4, v[2:3]
	v_lshlrev_b64 v[3:4], 4, v[4:5]
	v_sub_nc_u32_e32 v86, v0, v6
	v_add_co_u32 v0, s0, s8, v1
	v_add_co_ci_u32_e64 v1, s0, s9, v2, s0
	v_lshlrev_b32_e32 v2, 4, v86
	v_add_co_u32 v0, s0, v0, v3
	v_add_co_ci_u32_e64 v1, s0, v1, v4, s0
	v_add_co_u32 v8, s0, v0, v2
	v_add_co_ci_u32_e64 v9, s0, 0, v1, s0
	s_clause 0x1
	global_load_dwordx4 v[0:3], v[8:9], off
	global_load_dwordx4 v[4:7], v[8:9], off offset:1936
	v_add_co_u32 v10, s0, 0x1000, v8
	v_add_co_ci_u32_e64 v11, s0, 0, v9, s0
	v_add_co_u32 v12, s0, 0x2800, v8
	v_add_co_ci_u32_e64 v13, s0, 0, v9, s0
	;; [unrolled: 2-line block ×7, first 2 shown]
	s_clause 0x6
	global_load_dwordx4 v[32:35], v[10:11], off offset:1712
	global_load_dwordx4 v[8:11], v[12:13], off offset:1376
	global_load_dwordx4 v[28:31], v[14:15], off offset:1600
	global_load_dwordx4 v[12:15], v[16:17], off offset:1264
	global_load_dwordx4 v[16:19], v[18:19], off offset:1824
	global_load_dwordx4 v[24:27], v[20:21], off offset:1488
	global_load_dwordx4 v[20:23], v[22:23], off offset:1152
.LBB0_13:
	s_or_b32 exec_lo, exec_lo, s1
	s_waitcnt vmcnt(5)
	v_add_f64 v[36:37], v[8:9], v[32:33]
	v_add_f64 v[38:39], v[10:11], v[34:35]
	s_waitcnt vmcnt(3)
	v_add_f64 v[40:41], v[12:13], v[28:29]
	v_add_f64 v[42:43], v[14:15], v[30:31]
	;; [unrolled: 3-line block ×3, first 2 shown]
	v_add_f64 v[48:49], v[32:33], v[0:1]
	v_add_f64 v[50:51], v[34:35], v[2:3]
	;; [unrolled: 1-line block ×6, first 2 shown]
	v_add_f64 v[34:35], v[34:35], -v[10:11]
	v_add_f64 v[60:61], v[28:29], -v[12:13]
	;; [unrolled: 1-line block ×4, first 2 shown]
	s_mov_b32 s0, 0xe8584caa
	s_mov_b32 s1, 0xbfebb67a
	;; [unrolled: 1-line block ×4, first 2 shown]
	s_load_dwordx2 s[2:3], s[2:3], 0x0
	v_fma_f64 v[0:1], v[36:37], -0.5, v[0:1]
	v_add_f64 v[36:37], v[32:33], -v[8:9]
	v_fma_f64 v[2:3], v[38:39], -0.5, v[2:3]
	v_add_f64 v[38:39], v[30:31], -v[14:15]
	v_fma_f64 v[40:41], v[40:41], -0.5, v[4:5]
	v_fma_f64 v[42:43], v[42:43], -0.5, v[6:7]
	v_fma_f64 v[44:45], v[44:45], -0.5, v[16:17]
	v_fma_f64 v[46:47], v[46:47], -0.5, v[18:19]
	v_add_f64 v[8:9], v[8:9], v[48:49]
	v_add_f64 v[10:11], v[10:11], v[50:51]
	;; [unrolled: 1-line block ×6, first 2 shown]
	v_fma_f64 v[32:33], v[34:35], s[0:1], v[0:1]
	v_fma_f64 v[28:29], v[34:35], s[4:5], v[0:1]
	;; [unrolled: 1-line block ×12, first 2 shown]
	v_mad_u32_u24 v36, v86, 48, 0
	v_cmp_gt_u32_e64 s0, 0x63, v86
                                        ; implicit-def: $vgpr42_vgpr43
                                        ; implicit-def: $vgpr38_vgpr39
	ds_write_b128 v36, v[8:11]
	ds_write_b128 v36, v[16:19] offset:5808
	ds_write_b128 v36, v[4:7] offset:11616
	;; [unrolled: 1-line block ×8, first 2 shown]
	s_waitcnt lgkmcnt(0)
	s_barrier
	buffer_gl0_inv
	s_and_saveexec_b32 s1, s0
	s_cbranch_execz .LBB0_15
; %bb.14:
	v_lshlrev_b32_e32 v0, 5, v86
	v_sub_nc_u32_e32 v40, v36, v0
	ds_read_b128 v[8:11], v40
	ds_read_b128 v[32:35], v40 offset:1584
	ds_read_b128 v[28:31], v40 offset:3168
	;; [unrolled: 1-line block ×10, first 2 shown]
.LBB0_15:
	s_or_b32 exec_lo, exec_lo, s1
	v_and_b32_e32 v137, 0xff, v86
	v_mov_b32_e32 v45, 10
	s_mov_b32 s4, 0xf8bb580b
	s_mov_b32 s6, 0x8764f0ba
	;; [unrolled: 1-line block ×3, first 2 shown]
	v_mul_lo_u16 v44, 0xab, v137
	s_mov_b32 s5, 0xbfe14ced
	s_mov_b32 s7, 0x3feaeb8c
	;; [unrolled: 1-line block ×4, first 2 shown]
	v_lshrrev_b16 v138, 9, v44
	s_mov_b32 s9, 0x3fda9628
	s_mov_b32 s16, 0x7f775887
	;; [unrolled: 1-line block ×4, first 2 shown]
	v_mul_lo_u16 v44, v138, 3
	s_mov_b32 s21, 0xbfe82f19
	s_mov_b32 s18, 0x640f44db
	;; [unrolled: 1-line block ×4, first 2 shown]
	v_sub_nc_u16 v139, v86, v44
	s_mov_b32 s26, 0xfd768dbf
	s_mov_b32 s19, 0xbfc2375f
	;; [unrolled: 1-line block ×4, first 2 shown]
	v_mul_u32_u24_sdwa v44, v139, v45 dst_sel:DWORD dst_unused:UNUSED_PAD src0_sel:BYTE_0 src1_sel:DWORD
	s_mov_b32 s27, 0x3fd207e7
	s_mov_b32 s29, 0x3fefac9e
	;; [unrolled: 1-line block ×4, first 2 shown]
	v_lshlrev_b32_e32 v44, 4, v44
	s_mov_b32 s31, 0x3fe14ced
	s_mov_b32 s34, s26
	;; [unrolled: 1-line block ×3, first 2 shown]
	s_clause 0x9
	global_load_dwordx4 v[46:49], v44, s[12:13]
	global_load_dwordx4 v[50:53], v44, s[12:13] offset:144
	global_load_dwordx4 v[54:57], v44, s[12:13] offset:16
	global_load_dwordx4 v[58:61], v44, s[12:13] offset:128
	global_load_dwordx4 v[62:65], v44, s[12:13] offset:32
	global_load_dwordx4 v[66:69], v44, s[12:13] offset:112
	global_load_dwordx4 v[70:73], v44, s[12:13] offset:48
	global_load_dwordx4 v[80:83], v44, s[12:13] offset:96
	global_load_dwordx4 v[91:94], v44, s[12:13] offset:64
	global_load_dwordx4 v[140:143], v44, s[12:13] offset:80
	s_waitcnt vmcnt(0) lgkmcnt(0)
	s_barrier
	buffer_gl0_inv
	v_mul_f64 v[44:45], v[32:33], v[48:49]
	v_mul_f64 v[74:75], v[40:41], v[52:53]
	;; [unrolled: 1-line block ×10, first 2 shown]
	v_fma_f64 v[44:45], v[34:35], v[46:47], -v[44:45]
	v_fma_f64 v[34:35], v[42:43], v[50:51], -v[74:75]
	v_mul_f64 v[74:75], v[16:17], v[64:65]
	v_fma_f64 v[121:122], v[32:33], v[46:47], v[48:49]
	v_fma_f64 v[42:43], v[30:31], v[54:55], -v[76:77]
	v_fma_f64 v[32:33], v[38:39], v[58:59], -v[78:79]
	v_fma_f64 v[30:31], v[40:41], v[50:51], v[52:53]
	v_mul_f64 v[40:41], v[18:19], v[64:65]
	v_mul_f64 v[50:51], v[12:13], v[72:73]
	;; [unrolled: 1-line block ×4, first 2 shown]
	v_fma_f64 v[76:77], v[28:29], v[54:55], v[56:57]
	v_fma_f64 v[26:27], v[26:27], v[66:67], -v[89:90]
	v_mul_f64 v[54:55], v[0:1], v[93:94]
	v_mul_f64 v[56:57], v[4:5], v[142:143]
	v_fma_f64 v[113:114], v[4:5], v[140:141], v[103:104]
	v_add_f64 v[133:134], v[44:45], -v[34:35]
	v_add_f64 v[46:47], v[44:45], v[34:35]
	v_fma_f64 v[38:39], v[18:19], v[62:63], -v[74:75]
	v_fma_f64 v[18:19], v[36:37], v[58:59], v[60:61]
	v_add_f64 v[48:49], v[42:43], -v[32:33]
	v_add_f64 v[28:29], v[42:43], v[32:33]
	v_add_f64 v[119:120], v[121:122], v[30:31]
	v_add_f64 v[135:136], v[121:122], -v[30:31]
	v_mul_f64 v[36:37], v[14:15], v[72:73]
	v_mul_f64 v[58:59], v[22:23], v[82:83]
	v_fma_f64 v[127:128], v[16:17], v[62:63], v[40:41]
	v_fma_f64 v[117:118], v[14:15], v[70:71], -v[50:51]
	v_fma_f64 v[14:15], v[24:25], v[66:67], v[52:53]
	v_fma_f64 v[16:17], v[22:23], v[80:81], -v[64:65]
	v_mul_f64 v[72:73], v[2:3], v[93:94]
	v_fma_f64 v[111:112], v[2:3], v[91:92], -v[54:55]
	v_fma_f64 v[82:83], v[6:7], v[140:141], -v[56:57]
	v_mul_f64 v[105:106], v[133:134], s[4:5]
	v_mul_f64 v[109:110], v[46:47], s[6:7]
	;; [unrolled: 1-line block ×4, first 2 shown]
	v_add_f64 v[101:102], v[38:39], -v[26:27]
	v_add_f64 v[74:75], v[38:39], v[26:27]
	v_add_f64 v[62:63], v[76:77], v[18:19]
	v_add_f64 v[115:116], v[76:77], -v[18:19]
	v_mul_f64 v[40:41], v[48:49], s[14:15]
	v_mul_f64 v[68:69], v[28:29], s[8:9]
	;; [unrolled: 1-line block ×4, first 2 shown]
	v_fma_f64 v[123:124], v[12:13], v[70:71], v[36:37]
	v_fma_f64 v[24:25], v[20:21], v[80:81], v[58:59]
	v_add_f64 v[93:94], v[127:128], v[14:15]
	v_add_f64 v[99:100], v[127:128], -v[14:15]
	v_add_f64 v[50:51], v[117:118], -v[16:17]
	v_add_f64 v[12:13], v[117:118], v[16:17]
	v_fma_f64 v[125:126], v[0:1], v[91:92], v[72:73]
	v_add_f64 v[20:21], v[111:112], v[82:83]
	v_fma_f64 v[22:23], v[119:120], s[6:7], -v[105:106]
	v_fma_f64 v[60:61], v[135:136], s[4:5], v[109:110]
	v_fma_f64 v[64:65], v[119:120], s[8:9], -v[129:130]
	v_fma_f64 v[66:67], v[135:136], s[14:15], v[131:132]
	v_mul_f64 v[52:53], v[101:102], s[22:23]
	v_mul_f64 v[70:71], v[74:75], s[18:19]
	;; [unrolled: 1-line block ×4, first 2 shown]
	v_fma_f64 v[2:3], v[62:63], s[8:9], -v[40:41]
	v_fma_f64 v[6:7], v[115:116], s[14:15], v[68:69]
	v_fma_f64 v[36:37], v[62:63], s[16:17], -v[78:79]
	v_fma_f64 v[56:57], v[115:116], s[20:21], v[95:96]
	v_add_f64 v[103:104], v[123:124], -v[24:25]
	v_mul_f64 v[54:55], v[50:51], s[20:21]
	v_mul_f64 v[58:59], v[12:13], s[16:17]
	;; [unrolled: 1-line block ×3, first 2 shown]
	v_add_f64 v[80:81], v[8:9], v[22:23]
	v_add_f64 v[60:61], v[10:11], v[60:61]
	v_add_f64 v[107:108], v[8:9], v[64:65]
	v_add_f64 v[142:143], v[10:11], v[66:67]
	v_add_f64 v[22:23], v[123:124], v[24:25]
	v_add_f64 v[64:65], v[111:112], -v[82:83]
	v_mul_f64 v[66:67], v[50:51], s[28:29]
	v_fma_f64 v[0:1], v[93:94], s[18:19], -v[52:53]
	v_fma_f64 v[4:5], v[99:100], s[22:23], v[70:71]
	v_fma_f64 v[140:141], v[93:94], s[24:25], -v[89:90]
	v_fma_f64 v[144:145], v[99:100], s[26:27], v[97:98]
	v_fma_f64 v[150:151], v[103:104], s[20:21], v[58:59]
	v_fma_f64 v[154:155], v[103:104], s[28:29], v[91:92]
	v_add_f64 v[2:3], v[2:3], v[80:81]
	v_add_f64 v[6:7], v[6:7], v[60:61]
	;; [unrolled: 1-line block ×5, first 2 shown]
	v_add_f64 v[107:108], v[125:126], -v[113:114]
	v_mul_f64 v[56:57], v[64:65], s[34:35]
	v_mul_f64 v[60:61], v[20:21], s[24:25]
	;; [unrolled: 1-line block ×4, first 2 shown]
	v_fma_f64 v[148:149], v[22:23], s[16:17], -v[54:55]
	v_fma_f64 v[152:153], v[22:23], s[18:19], -v[66:67]
	v_add_f64 v[0:1], v[0:1], v[2:3]
	v_add_f64 v[2:3], v[4:5], v[6:7]
	;; [unrolled: 1-line block ×4, first 2 shown]
	v_fma_f64 v[140:141], v[36:37], s[24:25], -v[56:57]
	v_fma_f64 v[142:143], v[107:108], s[34:35], v[60:61]
	v_fma_f64 v[144:145], v[36:37], s[6:7], -v[72:73]
	v_fma_f64 v[146:147], v[107:108], s[30:31], v[80:81]
	v_add_f64 v[0:1], v[148:149], v[0:1]
	v_add_f64 v[2:3], v[150:151], v[2:3]
	;; [unrolled: 1-line block ×8, first 2 shown]
	s_and_saveexec_b32 s1, s0
	s_cbranch_execz .LBB0_17
; %bb.16:
	v_mul_f64 v[140:141], v[135:136], s[34:35]
	v_mul_f64 v[142:143], v[133:134], s[34:35]
	v_add_f64 v[44:45], v[10:11], v[44:45]
	v_add_f64 v[121:122], v[8:9], v[121:122]
	v_mul_f64 v[144:145], v[135:136], s[20:21]
	v_mul_f64 v[146:147], v[135:136], s[22:23]
	v_mul_f64 v[152:153], v[133:134], s[20:21]
	v_mul_f64 v[156:157], v[115:116], s[30:31]
	v_mul_f64 v[158:159], v[48:49], s[30:31]
	v_mul_f64 v[148:149], v[135:136], s[14:15]
	v_mul_f64 v[150:151], v[119:120], s[8:9]
	v_mul_f64 v[133:134], v[133:134], s[22:23]
	v_mul_f64 v[162:163], v[48:49], s[28:29]
	v_mul_f64 v[164:165], v[99:100], s[20:21]
	v_mul_f64 v[166:167], v[101:102], s[20:21]
	v_mul_f64 v[178:179], v[115:116], s[14:15]
	s_mov_b32 s15, 0x3fed1bb4
	v_mul_f64 v[135:136], v[135:136], s[4:5]
	v_mul_f64 v[160:161], v[115:116], s[28:29]
	;; [unrolled: 1-line block ×5, first 2 shown]
	v_fma_f64 v[170:171], v[46:47], s[24:25], v[140:141]
	v_fma_f64 v[172:173], v[119:120], s[24:25], -v[142:143]
	v_fma_f64 v[140:141], v[46:47], s[24:25], -v[140:141]
	v_fma_f64 v[142:143], v[119:120], s[24:25], v[142:143]
	v_add_f64 v[42:43], v[44:45], v[42:43]
	v_add_f64 v[76:77], v[121:122], v[76:77]
	v_fma_f64 v[186:187], v[46:47], s[16:17], v[144:145]
	v_fma_f64 v[190:191], v[119:120], s[16:17], -v[152:153]
	v_fma_f64 v[144:145], v[46:47], s[16:17], -v[144:145]
	v_fma_f64 v[192:193], v[46:47], s[18:19], v[146:147]
	v_fma_f64 v[46:47], v[46:47], s[18:19], -v[146:147]
	v_fma_f64 v[146:147], v[119:120], s[16:17], v[152:153]
	v_fma_f64 v[152:153], v[28:29], s[6:7], v[156:157]
	v_fma_f64 v[194:195], v[62:63], s[6:7], -v[158:159]
	v_fma_f64 v[156:157], v[28:29], s[6:7], -v[156:157]
	v_fma_f64 v[158:159], v[62:63], s[6:7], v[158:159]
	v_add_f64 v[131:132], v[131:132], -v[148:149]
	v_add_f64 v[129:130], v[150:151], v[129:130]
	v_fma_f64 v[148:149], v[119:120], s[18:19], -v[133:134]
	v_fma_f64 v[44:45], v[119:120], s[18:19], v[133:134]
	v_fma_f64 v[133:134], v[62:63], s[18:19], -v[162:163]
	v_mul_f64 v[154:155], v[119:120], s[6:7]
	v_add_f64 v[109:110], v[109:110], -v[135:136]
	v_mul_f64 v[176:177], v[115:116], s[26:27]
	v_add_f64 v[140:141], v[10:11], v[140:141]
	v_add_f64 v[142:143], v[8:9], v[142:143]
	;; [unrolled: 1-line block ×6, first 2 shown]
	v_fma_f64 v[186:187], v[74:75], s[16:17], v[164:165]
	v_fma_f64 v[190:191], v[93:94], s[16:17], -v[166:167]
	v_fma_f64 v[164:165], v[74:75], s[16:17], -v[164:165]
	v_fma_f64 v[166:167], v[93:94], s[16:17], v[166:167]
	v_mul_f64 v[182:183], v[50:51], s[34:35]
	v_fma_f64 v[119:120], v[28:29], s[18:19], v[160:161]
	v_fma_f64 v[162:163], v[62:63], s[18:19], v[162:163]
	v_add_f64 v[146:147], v[8:9], v[146:147]
	v_fma_f64 v[42:43], v[93:94], s[6:7], -v[174:175]
	v_add_f64 v[170:171], v[10:11], v[170:171]
	v_add_f64 v[144:145], v[10:11], v[144:145]
	;; [unrolled: 1-line block ×6, first 2 shown]
	v_mul_f64 v[115:116], v[115:116], s[20:21]
	v_add_f64 v[140:141], v[156:157], v[140:141]
	v_add_f64 v[142:143], v[158:159], v[142:143]
	;; [unrolled: 1-line block ×4, first 2 shown]
	v_fma_f64 v[117:118], v[12:13], s[8:9], -v[184:185]
	v_add_f64 v[133:134], v[133:134], v[150:151]
	v_fma_f64 v[123:124], v[22:23], s[8:9], v[188:189]
	v_add_f64 v[10:11], v[10:11], v[109:110]
	v_mul_f64 v[109:110], v[62:63], s[16:17]
	v_fma_f64 v[160:161], v[28:29], s[18:19], -v[160:161]
	v_fma_f64 v[150:151], v[28:29], s[24:25], v[176:177]
	v_add_f64 v[119:120], v[119:120], v[121:122]
	v_fma_f64 v[121:122], v[93:94], s[6:7], v[174:175]
	v_add_f64 v[146:147], v[162:163], v[146:147]
	v_mul_f64 v[48:49], v[48:49], s[26:27]
	v_fma_f64 v[28:29], v[28:29], s[24:25], -v[176:177]
	v_mul_f64 v[101:102], v[101:102], s[14:15]
	v_mul_f64 v[168:169], v[99:100], s[4:5]
	v_add_f64 v[172:173], v[8:9], v[172:173]
	v_add_f64 v[129:130], v[8:9], v[129:130]
	;; [unrolled: 1-line block ×3, first 2 shown]
	v_add_f64 v[95:96], v[95:96], -v[115:116]
	v_add_f64 v[140:141], v[164:165], v[140:141]
	v_add_f64 v[142:143], v[166:167], v[142:143]
	;; [unrolled: 1-line block ×4, first 2 shown]
	v_mul_f64 v[125:126], v[99:100], s[26:27]
	v_add_f64 v[42:43], v[42:43], v[133:134]
	v_fma_f64 v[133:134], v[22:23], s[24:25], -v[182:183]
	v_add_f64 v[44:45], v[8:9], v[44:45]
	v_add_f64 v[78:79], v[109:110], v[78:79]
	v_mul_f64 v[162:163], v[99:100], s[14:15]
	v_add_f64 v[8:9], v[8:9], v[105:106]
	v_mul_f64 v[180:181], v[103:104], s[34:35]
	v_add_f64 v[144:145], v[160:161], v[144:145]
	v_add_f64 v[121:122], v[121:122], v[146:147]
	v_fma_f64 v[146:147], v[62:63], s[24:25], v[48:49]
	v_add_f64 v[28:29], v[28:29], v[46:47]
	v_mul_f64 v[46:47], v[99:100], s[22:23]
	v_fma_f64 v[48:49], v[62:63], s[24:25], -v[48:49]
	v_fma_f64 v[99:100], v[93:94], s[8:9], v[101:102]
	v_fma_f64 v[135:136], v[74:75], s[6:7], v[168:169]
	v_fma_f64 v[127:128], v[74:75], s[6:7], -v[168:169]
	v_add_f64 v[152:153], v[152:153], v[170:171]
	v_add_f64 v[111:112], v[117:118], v[140:141]
	v_add_f64 v[117:118], v[123:124], v[142:143]
	v_mul_f64 v[123:124], v[62:63], s[8:9]
	v_add_f64 v[38:39], v[38:39], v[82:83]
	v_add_f64 v[76:77], v[76:77], v[113:114]
	v_add_f64 v[62:63], v[68:69], -v[178:179]
	v_add_f64 v[42:43], v[133:134], v[42:43]
	v_mul_f64 v[133:134], v[93:94], s[24:25]
	v_fma_f64 v[68:69], v[93:94], s[8:9], -v[101:102]
	v_mul_f64 v[93:94], v[93:94], s[18:19]
	v_add_f64 v[170:171], v[194:195], v[172:173]
	v_add_f64 v[97:98], v[97:98], -v[125:126]
	v_add_f64 v[95:96], v[95:96], v[131:132]
	v_add_f64 v[78:79], v[78:79], v[129:130]
	v_mul_f64 v[129:130], v[103:104], s[28:29]
	v_mul_f64 v[101:102], v[22:23], s[16:17]
	;; [unrolled: 1-line block ×3, first 2 shown]
	v_add_f64 v[46:47], v[70:71], -v[46:47]
	v_fma_f64 v[115:116], v[74:75], s[8:9], v[162:163]
	v_fma_f64 v[74:75], v[74:75], s[8:9], -v[162:163]
	v_add_f64 v[44:45], v[146:147], v[44:45]
	v_mul_f64 v[103:104], v[103:104], s[4:5]
	v_mul_f64 v[50:51], v[50:51], s[4:5]
	v_add_f64 v[119:120], v[135:136], v[119:120]
	v_add_f64 v[40:41], v[123:124], v[40:41]
	;; [unrolled: 1-line block ×5, first 2 shown]
	v_mul_f64 v[123:124], v[22:23], s[18:19]
	v_add_f64 v[89:90], v[133:134], v[89:90]
	v_fma_f64 v[135:136], v[12:13], s[24:25], v[180:181]
	v_add_f64 v[52:53], v[93:94], v[52:53]
	v_add_f64 v[105:106], v[127:128], v[144:145]
	;; [unrolled: 1-line block ×5, first 2 shown]
	v_fma_f64 v[160:161], v[22:23], s[8:9], -v[188:189]
	v_mul_f64 v[113:114], v[64:65], s[22:23]
	v_mul_f64 v[70:71], v[36:37], s[24:25]
	;; [unrolled: 1-line block ×4, first 2 shown]
	v_add_f64 v[91:92], v[91:92], -v[129:130]
	v_add_f64 v[95:96], v[97:98], v[95:96]
	v_add_f64 v[58:59], v[58:59], -v[82:83]
	v_mul_f64 v[93:94], v[36:37], s[6:7]
	v_mul_f64 v[109:110], v[107:108], s[22:23]
	v_add_f64 v[8:9], v[40:41], v[8:9]
	v_add_f64 v[16:17], v[16:17], v[26:27]
	;; [unrolled: 1-line block ×7, first 2 shown]
	v_mul_f64 v[125:126], v[107:108], s[14:15]
	v_mul_f64 v[131:132], v[64:65], s[14:15]
	v_add_f64 v[28:29], v[74:75], v[28:29]
	v_mul_f64 v[107:108], v[107:108], s[20:21]
	v_fma_f64 v[129:130], v[12:13], s[6:7], -v[103:104]
	v_mul_f64 v[64:65], v[64:65], s[20:21]
	v_fma_f64 v[97:98], v[22:23], s[6:7], v[50:51]
	v_add_f64 v[26:27], v[99:100], v[44:45]
	v_add_f64 v[119:120], v[135:136], v[119:120]
	v_fma_f64 v[135:136], v[12:13], s[24:25], -v[180:181]
	v_fma_f64 v[140:141], v[22:23], s[24:25], v[182:183]
	v_add_f64 v[152:153], v[186:187], v[152:153]
	v_fma_f64 v[158:159], v[12:13], s[8:9], v[184:185]
	v_fma_f64 v[12:13], v[12:13], s[6:7], v[103:104]
	v_add_f64 v[44:45], v[115:116], v[127:128]
	v_add_f64 v[8:9], v[52:53], v[8:9]
	v_fma_f64 v[22:23], v[22:23], s[6:7], -v[50:51]
	v_add_f64 v[48:49], v[68:69], v[48:49]
	v_add_f64 v[150:151], v[160:161], v[156:157]
	v_fma_f64 v[40:41], v[36:37], s[18:19], -v[113:114]
	v_add_f64 v[38:39], v[80:81], -v[38:39]
	v_add_f64 v[80:81], v[91:92], v[95:96]
	v_add_f64 v[60:61], v[60:61], -v[62:63]
	v_add_f64 v[56:57], v[70:71], v[56:57]
	v_add_f64 v[62:63], v[16:17], v[32:33]
	;; [unrolled: 1-line block ×6, first 2 shown]
	v_fma_f64 v[78:79], v[20:21], s[16:17], -v[107:108]
	v_add_f64 v[28:29], v[129:130], v[28:29]
	v_fma_f64 v[82:83], v[36:37], s[16:17], v[64:65]
	v_add_f64 v[66:67], v[97:98], v[26:27]
	v_fma_f64 v[52:53], v[20:21], s[8:9], -v[125:126]
	v_add_f64 v[50:51], v[135:136], v[105:106]
	v_fma_f64 v[54:55], v[36:37], s[8:9], v[131:132]
	v_add_f64 v[68:69], v[140:141], v[121:122]
	v_add_f64 v[46:47], v[46:47], v[8:9]
	v_fma_f64 v[76:77], v[20:21], s[18:19], v[109:110]
	v_fma_f64 v[109:110], v[20:21], s[18:19], -v[109:110]
	v_fma_f64 v[113:114], v[36:37], s[18:19], v[113:114]
	v_add_f64 v[144:145], v[158:159], v[152:153]
	v_fma_f64 v[133:134], v[20:21], s[8:9], v[125:126]
	v_fma_f64 v[74:75], v[36:37], s[8:9], -v[131:132]
	v_fma_f64 v[89:90], v[20:21], s[16:17], v[107:108]
	v_add_f64 v[44:45], v[12:13], v[44:45]
	v_fma_f64 v[64:65], v[36:37], s[16:17], -v[64:65]
	v_add_f64 v[48:49], v[22:23], v[48:49]
	v_add_f64 v[8:9], v[40:41], v[150:151]
	;; [unrolled: 1-line block ×10, first 2 shown]
	v_mov_b32_e32 v28, 0x210
	v_add_f64 v[20:21], v[54:55], v[68:69]
	v_add_f64 v[34:35], v[56:57], v[46:47]
	v_mov_b32_e32 v29, 4
	v_add_f64 v[14:15], v[109:110], v[111:112]
	v_add_f64 v[12:13], v[113:114], v[117:118]
	;; [unrolled: 1-line block ×5, first 2 shown]
	v_mul_u32_u24_sdwa v28, v138, v28 dst_sel:DWORD dst_unused:UNUSED_PAD src0_sel:WORD_0 src1_sel:DWORD
	v_add_f64 v[44:45], v[89:90], v[44:45]
	v_lshlrev_b32_sdwa v29, v29, v139 dst_sel:DWORD dst_unused:UNUSED_PAD src0_sel:DWORD src1_sel:BYTE_0
	v_add_f64 v[42:43], v[64:65], v[48:49]
	v_add3_u32 v28, 0, v28, v29
	ds_write_b128 v28, v[38:41]
	ds_write_b128 v28, v[34:37] offset:48
	ds_write_b128 v28, v[30:33] offset:96
	;; [unrolled: 1-line block ×10, first 2 shown]
.LBB0_17:
	s_or_b32 exec_lo, exec_lo, s1
	v_add_nc_u16 v8, v86, 0x79
	v_add_nc_u32_e32 v9, 0xf2, v86
	v_mov_b32_e32 v10, 0xf83f
	v_mul_lo_u16 v11, 0xf9, v137
	s_waitcnt lgkmcnt(0)
	v_and_b32_e32 v12, 0xff, v8
	s_barrier
	v_mul_u32_u24_sdwa v10, v9, v10 dst_sel:DWORD dst_unused:UNUSED_PAD src0_sel:WORD_0 src1_sel:DWORD
	v_lshrrev_b16 v77, 13, v11
	buffer_gl0_inv
	v_mul_lo_u16 v11, 0xf9, v12
	v_mov_b32_e32 v12, 5
	v_lshrrev_b32_e32 v78, 21, v10
	v_mul_lo_u16 v10, v77, 33
	v_lshl_add_u32 v44, v86, 4, 0
	v_lshrrev_b16 v79, 13, v11
	s_mov_b32 s4, 0xe8584caa
	v_mul_lo_u16 v11, v78, 33
	v_sub_nc_u16 v80, v86, v10
	s_mov_b32 s5, 0xbfebb67a
	v_mul_lo_u16 v10, v79, 33
	s_mov_b32 s7, 0x3febb67a
	v_sub_nc_u16 v81, v9, v11
	v_lshlrev_b32_sdwa v13, v12, v80 dst_sel:DWORD dst_unused:UNUSED_PAD src0_sel:DWORD src1_sel:BYTE_0
	s_mov_b32 s6, s4
	v_sub_nc_u16 v82, v8, v10
	v_lshlrev_b32_sdwa v20, v12, v81 dst_sel:DWORD dst_unused:UNUSED_PAD src0_sel:DWORD src1_sel:WORD_0
	global_load_dwordx4 v[8:11], v13, s[12:13] offset:480
	v_lshlrev_b32_sdwa v28, v12, v82 dst_sel:DWORD dst_unused:UNUSED_PAD src0_sel:DWORD src1_sel:BYTE_0
	s_clause 0x4
	global_load_dwordx4 v[12:15], v13, s[12:13] offset:496
	global_load_dwordx4 v[16:19], v20, s[12:13] offset:480
	;; [unrolled: 1-line block ×5, first 2 shown]
	ds_read_b128 v[32:35], v44 offset:5808
	ds_read_b128 v[36:39], v44 offset:11616
	;; [unrolled: 1-line block ×7, first 2 shown]
	s_waitcnt vmcnt(5) lgkmcnt(6)
	v_mul_f64 v[61:62], v[34:35], v[10:11]
	v_mul_f64 v[10:11], v[32:33], v[10:11]
	s_waitcnt vmcnt(4) lgkmcnt(5)
	v_mul_f64 v[63:64], v[38:39], v[14:15]
	v_mul_f64 v[14:15], v[36:37], v[14:15]
	s_waitcnt vmcnt(3) lgkmcnt(4)
	v_mul_f64 v[65:66], v[42:43], v[18:19]
	s_waitcnt vmcnt(2) lgkmcnt(3)
	;; [unrolled: 2-line block ×4, first 2 shown]
	v_mul_f64 v[71:72], v[55:56], v[30:31]
	v_mul_f64 v[26:27], v[49:50], v[26:27]
	;; [unrolled: 1-line block ×5, first 2 shown]
	v_fma_f64 v[32:33], v[32:33], v[8:9], v[61:62]
	v_fma_f64 v[34:35], v[34:35], v[8:9], -v[10:11]
	v_fma_f64 v[36:37], v[36:37], v[12:13], v[63:64]
	v_fma_f64 v[38:39], v[38:39], v[12:13], -v[14:15]
	v_fma_f64 v[40:41], v[40:41], v[16:17], v[65:66]
	v_fma_f64 v[45:46], v[45:46], v[20:21], v[67:68]
	;; [unrolled: 1-line block ×4, first 2 shown]
	v_fma_f64 v[24:25], v[51:52], v[24:25], -v[26:27]
	v_fma_f64 v[26:27], v[55:56], v[28:29], -v[30:31]
	;; [unrolled: 1-line block ×4, first 2 shown]
	ds_read_b128 v[8:11], v44
	ds_read_b128 v[12:15], v44 offset:1936
	s_waitcnt lgkmcnt(0)
	s_barrier
	buffer_gl0_inv
	v_add_f64 v[20:21], v[32:33], v[36:37]
	v_add_f64 v[22:23], v[34:35], v[38:39]
	v_add_f64 v[55:56], v[34:35], -v[38:39]
	v_add_f64 v[28:29], v[40:41], v[45:46]
	v_add_f64 v[61:62], v[32:33], -v[36:37]
	;; [unrolled: 2-line block ×3, first 2 shown]
	v_add_f64 v[42:43], v[24:25], v[26:27]
	v_add_f64 v[51:52], v[8:9], v[32:33]
	;; [unrolled: 1-line block ×8, first 2 shown]
	v_add_f64 v[71:72], v[16:17], -v[18:19]
	v_add_f64 v[24:25], v[24:25], -v[26:27]
	;; [unrolled: 1-line block ×3, first 2 shown]
	v_fma_f64 v[69:70], v[20:21], -0.5, v[8:9]
	v_fma_f64 v[73:74], v[22:23], -0.5, v[10:11]
	v_fma_f64 v[57:58], v[28:29], -0.5, v[57:58]
	v_fma_f64 v[30:31], v[30:31], -0.5, v[12:13]
	v_fma_f64 v[42:43], v[42:43], -0.5, v[14:15]
	v_add_f64 v[8:9], v[51:52], v[36:37]
	v_fma_f64 v[47:48], v[47:48], -0.5, v[59:60]
	v_add_f64 v[10:11], v[34:35], v[38:39]
	v_add_f64 v[32:33], v[32:33], v[45:46]
	;; [unrolled: 1-line block ×5, first 2 shown]
	v_mov_b32_e32 v59, 0x630
	v_mov_b32_e32 v60, 4
	v_mul_u32_u24_e32 v46, 0x630, v78
	v_mul_u32_u24_sdwa v45, v77, v59 dst_sel:DWORD dst_unused:UNUSED_PAD src0_sel:WORD_0 src1_sel:DWORD
	v_fma_f64 v[20:21], v[55:56], s[4:5], v[69:70]
	v_fma_f64 v[12:13], v[55:56], s[6:7], v[69:70]
	;; [unrolled: 1-line block ×12, first 2 shown]
	v_lshlrev_b32_sdwa v47, v60, v80 dst_sel:DWORD dst_unused:UNUSED_PAD src0_sel:DWORD src1_sel:BYTE_0
	v_mul_u32_u24_sdwa v49, v79, v59 dst_sel:DWORD dst_unused:UNUSED_PAD src0_sel:WORD_0 src1_sel:DWORD
	v_lshlrev_b32_sdwa v50, v60, v82 dst_sel:DWORD dst_unused:UNUSED_PAD src0_sel:DWORD src1_sel:BYTE_0
	v_lshlrev_b32_sdwa v48, v60, v81 dst_sel:DWORD dst_unused:UNUSED_PAD src0_sel:DWORD src1_sel:WORD_0
	v_add3_u32 v45, 0, v45, v47
	v_add3_u32 v47, 0, v49, v50
	;; [unrolled: 1-line block ×3, first 2 shown]
	ds_write_b128 v45, v[8:11]
	ds_write_b128 v45, v[20:23] offset:528
	ds_write_b128 v45, v[12:15] offset:1056
	ds_write_b128 v47, v[16:19]
	ds_write_b128 v47, v[28:31] offset:528
	ds_write_b128 v47, v[36:39] offset:1056
	;; [unrolled: 3-line block ×3, first 2 shown]
	s_waitcnt lgkmcnt(0)
	s_barrier
	buffer_gl0_inv
	s_and_saveexec_b32 s1, s0
	s_cbranch_execz .LBB0_19
; %bb.18:
	ds_read_b128 v[8:11], v44
	ds_read_b128 v[20:23], v44 offset:1584
	ds_read_b128 v[12:15], v44 offset:3168
	;; [unrolled: 1-line block ×10, first 2 shown]
.LBB0_19:
	s_or_b32 exec_lo, exec_lo, s1
	v_cmp_gt_u32_e64 s1, 0x63, v86
	s_and_b32 s1, vcc_lo, s1
	s_and_saveexec_b32 s4, s1
	s_cbranch_execz .LBB0_21
; %bb.20:
	v_add_nc_u32_e32 v44, 0xffffff9d, v86
	v_mov_b32_e32 v90, 0
	v_mul_lo_u32 v91, s2, v88
	v_lshlrev_b64 v[84:85], 4, v[84:85]
	s_mov_b32 s14, 0xbb3a28a1
	v_cndmask_b32_e64 v44, v44, v86, s0
	s_mov_b32 s16, 0xf8bb580b
	s_mov_b32 s18, 0xfd768dbf
	s_mov_b32 s15, 0xbfe82f19
	s_mov_b32 s17, 0x3fe14ced
	v_mul_i32_i24_e32 v89, 10, v44
	s_mov_b32 s19, 0xbfd207e7
	s_mov_b32 s23, 0xbfe14ced
	;; [unrolled: 1-line block ×4, first 2 shown]
	v_lshlrev_b64 v[44:45], 4, v[89:90]
	v_mul_lo_u32 v89, s3, v87
	v_mad_u64_u32 v[87:88], null, s2, v87, 0
	s_mov_b32 s8, 0x8eee2c13
	s_mov_b32 s25, 0x3fd207e7
	v_add_co_u32 v72, vcc_lo, s12, v44
	v_add_co_ci_u32_e32 v73, vcc_lo, s13, v45, vcc_lo
	v_add3_u32 v88, v88, v91, v89
	s_mov_b32 s12, 0x43842ef
	s_mov_b32 s13, 0xbfefac9e
	s_clause 0x9
	global_load_dwordx4 v[56:59], v[72:73], off offset:1600
	global_load_dwordx4 v[52:55], v[72:73], off offset:1616
	;; [unrolled: 1-line block ×10, first 2 shown]
	s_mov_b32 s24, s18
	v_lshlrev_b64 v[88:89], 4, v[87:88]
	v_mov_b32_e32 v87, v90
	s_mov_b32 s2, 0x640f44db
	s_mov_b32 s4, 0x7f775887
	;; [unrolled: 1-line block ×4, first 2 shown]
	v_add_co_u32 v88, vcc_lo, s10, v88
	v_add_co_ci_u32_e32 v89, vcc_lo, s11, v89, vcc_lo
	v_lshlrev_b64 v[86:87], 4, v[86:87]
	v_add_co_u32 v84, vcc_lo, v88, v84
	v_add_co_ci_u32_e32 v85, vcc_lo, v89, v85, vcc_lo
	s_mov_b32 s3, 0xbfc2375f
	v_add_co_u32 v84, vcc_lo, v84, v86
	v_add_co_ci_u32_e32 v85, vcc_lo, v85, v87, vcc_lo
	s_mov_b32 s5, 0xbfe4f49e
	s_mov_b32 s7, 0x3feaeb8c
	;; [unrolled: 1-line block ×7, first 2 shown]
	s_waitcnt vmcnt(9) lgkmcnt(5)
	v_mul_f64 v[86:87], v[38:39], v[58:59]
	v_mul_f64 v[58:59], v[36:37], v[58:59]
	s_waitcnt vmcnt(7)
	v_mul_f64 v[90:91], v[30:31], v[66:67]
	s_waitcnt vmcnt(6) lgkmcnt(3)
	v_mul_f64 v[92:93], v[42:43], v[62:63]
	v_mul_f64 v[66:67], v[28:29], v[66:67]
	;; [unrolled: 1-line block ×3, first 2 shown]
	s_waitcnt vmcnt(3)
	v_mul_f64 v[100:101], v[22:23], v[78:79]
	s_waitcnt vmcnt(2) lgkmcnt(0)
	v_mul_f64 v[102:103], v[6:7], v[82:83]
	v_mul_f64 v[78:79], v[20:21], v[78:79]
	;; [unrolled: 1-line block ×5, first 2 shown]
	s_waitcnt vmcnt(1)
	v_mul_f64 v[104:105], v[14:15], v[70:71]
	s_waitcnt vmcnt(0)
	v_mul_f64 v[106:107], v[2:3], v[74:75]
	v_mul_f64 v[70:71], v[12:13], v[70:71]
	;; [unrolled: 1-line block ×7, first 2 shown]
	v_add_co_u32 v54, vcc_lo, 0x800, v84
	v_fma_f64 v[36:37], v[36:37], v[56:57], v[86:87]
	v_add_co_ci_u32_e32 v55, vcc_lo, 0, v85, vcc_lo
	v_fma_f64 v[28:29], v[28:29], v[64:65], v[90:91]
	v_fma_f64 v[40:41], v[40:41], v[60:61], v[92:93]
	v_fma_f64 v[30:31], v[30:31], v[64:65], -v[66:67]
	v_fma_f64 v[42:43], v[42:43], v[60:61], -v[94:95]
	v_fma_f64 v[20:21], v[20:21], v[76:77], v[100:101]
	v_fma_f64 v[60:61], v[4:5], v[80:81], v[102:103]
	v_fma_f64 v[4:5], v[22:23], v[76:77], -v[78:79]
	v_fma_f64 v[64:65], v[6:7], v[80:81], -v[82:83]
	;; [unrolled: 1-line block ×4, first 2 shown]
	v_fma_f64 v[12:13], v[12:13], v[68:69], v[104:105]
	v_fma_f64 v[0:1], v[0:1], v[72:73], v[106:107]
	v_fma_f64 v[14:15], v[14:15], v[68:69], -v[70:71]
	v_fma_f64 v[2:3], v[2:3], v[72:73], -v[74:75]
	v_fma_f64 v[32:33], v[32:33], v[52:53], v[88:89]
	v_fma_f64 v[16:17], v[16:17], v[48:49], v[96:97]
	;; [unrolled: 1-line block ×3, first 2 shown]
	v_fma_f64 v[22:23], v[34:35], v[52:53], -v[62:63]
	v_fma_f64 v[26:27], v[26:27], v[44:45], -v[46:47]
	v_add_co_u32 v52, vcc_lo, 0x1000, v84
	v_add_co_ci_u32_e32 v53, vcc_lo, 0, v85, vcc_lo
	v_add_f64 v[38:39], v[28:29], -v[40:41]
	v_add_f64 v[80:81], v[28:29], v[40:41]
	v_add_f64 v[56:57], v[30:31], -v[42:43]
	v_add_f64 v[68:69], v[30:31], v[42:43]
	;; [unrolled: 2-line block ×4, first 2 shown]
	v_add_f64 v[4:5], v[10:11], v[4:5]
	v_add_f64 v[20:21], v[8:9], v[20:21]
	v_add_f64 v[82:83], v[12:13], -v[0:1]
	v_add_f64 v[90:91], v[12:13], v[0:1]
	v_add_f64 v[88:89], v[14:15], -v[2:3]
	v_add_f64 v[34:35], v[36:37], -v[32:33]
	v_add_f64 v[78:79], v[36:37], v[32:33]
	v_add_f64 v[48:49], v[16:17], -v[24:25]
	v_add_f64 v[62:63], v[6:7], -v[22:23]
	;; [unrolled: 1-line block ×3, first 2 shown]
	v_add_f64 v[92:93], v[16:17], v[24:25]
	v_add_f64 v[66:67], v[6:7], v[22:23]
	;; [unrolled: 1-line block ×4, first 2 shown]
	v_mul_f64 v[96:97], v[38:39], s[8:9]
	v_mul_f64 v[108:109], v[38:39], s[18:19]
	;; [unrolled: 1-line block ×8, first 2 shown]
	v_add_f64 v[4:5], v[14:15], v[4:5]
	v_add_f64 v[12:13], v[12:13], v[20:21]
	v_mul_f64 v[124:125], v[50:51], s[12:13]
	v_mul_f64 v[136:137], v[50:51], s[22:23]
	;; [unrolled: 1-line block ×8, first 2 shown]
	s_mov_b32 s9, 0xbfed1bb4
	v_mul_f64 v[162:163], v[88:89], s[14:15]
	v_mul_f64 v[164:165], v[70:71], s[14:15]
	v_mul_f64 v[166:167], v[70:71], s[22:23]
	v_mul_f64 v[168:169], v[70:71], s[24:25]
	v_mul_f64 v[70:71], v[70:71], s[12:13]
	v_mul_f64 v[50:51], v[50:51], s[8:9]
	v_mul_f64 v[58:59], v[58:59], s[8:9]
	v_mul_f64 v[94:95], v[34:35], s[12:13]
	v_mul_f64 v[98:99], v[48:49], s[14:15]
	v_mul_f64 v[110:111], v[48:49], s[22:23]
	v_mul_f64 v[118:119], v[34:35], s[14:15]
	v_add_f64 v[4:5], v[18:19], v[4:5]
	v_add_f64 v[12:13], v[16:17], v[12:13]
	v_mul_f64 v[130:131], v[34:35], s[16:17]
	v_mul_f64 v[132:133], v[38:39], s[26:27]
	;; [unrolled: 1-line block ×20, first 2 shown]
	v_add_f64 v[4:5], v[30:31], v[4:5]
	v_add_f64 v[12:13], v[28:29], v[12:13]
	v_mul_f64 v[160:161], v[88:89], s[24:25]
	v_mul_f64 v[82:83], v[82:83], s[8:9]
	;; [unrolled: 1-line block ×3, first 2 shown]
	v_fma_f64 v[176:177], v[74:75], s[20:21], v[100:101]
	v_fma_f64 v[178:179], v[76:77], s[20:21], -v[104:105]
	v_fma_f64 v[100:101], v[74:75], s[20:21], -v[100:101]
	v_fma_f64 v[104:105], v[76:77], s[20:21], v[104:105]
	v_fma_f64 v[186:187], v[74:75], s[4:5], v[112:113]
	v_fma_f64 v[188:189], v[76:77], s[4:5], -v[116:117]
	v_fma_f64 v[112:113], v[74:75], s[4:5], -v[112:113]
	v_fma_f64 v[196:197], v[74:75], s[2:3], v[124:125]
	;; [unrolled: 4-line block ×4, first 2 shown]
	v_fma_f64 v[28:29], v[90:91], s[4:5], -v[162:163]
	v_fma_f64 v[30:31], v[90:91], s[4:5], v[162:163]
	v_fma_f64 v[162:163], v[92:93], s[4:5], -v[164:165]
	v_fma_f64 v[164:165], v[92:93], s[4:5], v[164:165]
	;; [unrolled: 2-line block ×6, first 2 shown]
	v_fma_f64 v[92:93], v[74:75], s[0:1], v[50:51]
	v_fma_f64 v[50:51], v[74:75], s[0:1], -v[50:51]
	v_fma_f64 v[74:75], v[76:77], s[0:1], -v[58:59]
	v_fma_f64 v[58:59], v[76:77], s[0:1], v[58:59]
	v_add_f64 v[4:5], v[6:7], v[4:5]
	v_add_f64 v[6:7], v[36:37], v[12:13]
	v_fma_f64 v[170:171], v[66:67], s[2:3], v[94:95]
	v_fma_f64 v[172:173], v[68:69], s[0:1], v[96:97]
	v_fma_f64 v[174:175], v[72:73], s[4:5], v[98:99]
	v_fma_f64 v[94:95], v[66:67], s[2:3], -v[94:95]
	v_fma_f64 v[96:97], v[68:69], s[0:1], -v[96:97]
	v_fma_f64 v[98:99], v[72:73], s[4:5], -v[98:99]
	v_fma_f64 v[180:181], v[66:67], s[0:1], v[106:107]
	v_fma_f64 v[182:183], v[68:69], s[20:21], v[108:109]
	v_fma_f64 v[184:185], v[72:73], s[6:7], v[110:111]
	v_fma_f64 v[106:107], v[66:67], s[0:1], -v[106:107]
	v_fma_f64 v[108:109], v[68:69], s[20:21], -v[108:109]
	v_fma_f64 v[110:111], v[72:73], s[6:7], -v[110:111]
	;; [unrolled: 6-line block ×4, first 2 shown]
	v_fma_f64 v[210:211], v[66:67], s[20:21], v[34:35]
	v_fma_f64 v[34:35], v[66:67], s[20:21], -v[34:35]
	v_fma_f64 v[66:67], v[68:69], s[4:5], v[38:39]
	v_fma_f64 v[38:39], v[68:69], s[4:5], -v[38:39]
	;; [unrolled: 2-line block ×3, first 2 shown]
	v_fma_f64 v[72:73], v[78:79], s[2:3], -v[140:141]
	v_fma_f64 v[140:141], v[78:79], s[2:3], v[140:141]
	v_fma_f64 v[212:213], v[78:79], s[0:1], -v[114:115]
	v_fma_f64 v[114:115], v[78:79], s[0:1], v[114:115]
	;; [unrolled: 2-line block ×10, first 2 shown]
	v_fma_f64 v[80:81], v[86:87], s[6:7], v[14:15]
	v_fma_f64 v[14:15], v[86:87], s[6:7], -v[14:15]
	v_fma_f64 v[224:225], v[86:87], s[2:3], v[152:153]
	v_fma_f64 v[152:153], v[86:87], s[2:3], -v[152:153]
	;; [unrolled: 2-line block ×4, first 2 shown]
	v_fma_f64 v[230:231], v[90:91], s[6:7], -v[20:21]
	v_fma_f64 v[20:21], v[90:91], s[6:7], v[20:21]
	v_fma_f64 v[232:233], v[90:91], s[2:3], -v[158:159]
	v_fma_f64 v[158:159], v[90:91], s[2:3], v[158:159]
	;; [unrolled: 2-line block ×3, first 2 shown]
	v_fma_f64 v[76:77], v[86:87], s[0:1], v[82:83]
	v_fma_f64 v[82:83], v[86:87], s[0:1], -v[82:83]
	v_fma_f64 v[86:87], v[90:91], s[0:1], -v[88:89]
	v_fma_f64 v[88:89], v[90:91], s[0:1], v[88:89]
	v_add_f64 v[12:13], v[10:11], v[176:177]
	v_add_f64 v[36:37], v[8:9], v[178:179]
	;; [unrolled: 1-line block ×102, first 2 shown]
	v_add_co_u32 v44, vcc_lo, 0x1800, v84
	v_add_f64 v[34:35], v[204:205], v[58:59]
	v_add_f64 v[32:33], v[216:217], v[66:67]
	;; [unrolled: 1-line block ×6, first 2 shown]
	v_add_co_ci_u32_e32 v45, vcc_lo, 0, v85, vcc_lo
	v_add_f64 v[30:31], v[210:211], v[50:51]
	v_add_f64 v[28:29], v[218:219], v[56:57]
	v_add_co_u32 v46, vcc_lo, 0x2000, v84
	v_add_co_ci_u32_e32 v47, vcc_lo, 0, v85, vcc_lo
	v_add_co_u32 v48, vcc_lo, 0x2800, v84
	v_add_co_ci_u32_e32 v49, vcc_lo, 0, v85, vcc_lo
	;; [unrolled: 2-line block ×4, first 2 shown]
	global_store_dwordx4 v[84:85], v[24:27], off offset:1584
	global_store_dwordx4 v[52:53], v[20:23], off offset:656
	;; [unrolled: 1-line block ×9, first 2 shown]
	global_store_dwordx4 v[84:85], v[40:43], off
	global_store_dwordx4 v[56:57], v[28:31], off offset:1504
.LBB0_21:
	s_endpgm
	.section	.rodata,"a",@progbits
	.p2align	6, 0x0
	.amdhsa_kernel fft_rtc_back_len1089_factors_3_11_3_11_wgs_121_tpt_121_dp_op_CI_CI_unitstride_sbrr_dirReg
		.amdhsa_group_segment_fixed_size 0
		.amdhsa_private_segment_fixed_size 0
		.amdhsa_kernarg_size 104
		.amdhsa_user_sgpr_count 6
		.amdhsa_user_sgpr_private_segment_buffer 1
		.amdhsa_user_sgpr_dispatch_ptr 0
		.amdhsa_user_sgpr_queue_ptr 0
		.amdhsa_user_sgpr_kernarg_segment_ptr 1
		.amdhsa_user_sgpr_dispatch_id 0
		.amdhsa_user_sgpr_flat_scratch_init 0
		.amdhsa_user_sgpr_private_segment_size 0
		.amdhsa_wavefront_size32 1
		.amdhsa_uses_dynamic_stack 0
		.amdhsa_system_sgpr_private_segment_wavefront_offset 0
		.amdhsa_system_sgpr_workgroup_id_x 1
		.amdhsa_system_sgpr_workgroup_id_y 0
		.amdhsa_system_sgpr_workgroup_id_z 0
		.amdhsa_system_sgpr_workgroup_info 0
		.amdhsa_system_vgpr_workitem_id 0
		.amdhsa_next_free_vgpr 244
		.amdhsa_next_free_sgpr 36
		.amdhsa_reserve_vcc 1
		.amdhsa_reserve_flat_scratch 0
		.amdhsa_float_round_mode_32 0
		.amdhsa_float_round_mode_16_64 0
		.amdhsa_float_denorm_mode_32 3
		.amdhsa_float_denorm_mode_16_64 3
		.amdhsa_dx10_clamp 1
		.amdhsa_ieee_mode 1
		.amdhsa_fp16_overflow 0
		.amdhsa_workgroup_processor_mode 1
		.amdhsa_memory_ordered 1
		.amdhsa_forward_progress 0
		.amdhsa_shared_vgpr_count 0
		.amdhsa_exception_fp_ieee_invalid_op 0
		.amdhsa_exception_fp_denorm_src 0
		.amdhsa_exception_fp_ieee_div_zero 0
		.amdhsa_exception_fp_ieee_overflow 0
		.amdhsa_exception_fp_ieee_underflow 0
		.amdhsa_exception_fp_ieee_inexact 0
		.amdhsa_exception_int_div_zero 0
	.end_amdhsa_kernel
	.text
.Lfunc_end0:
	.size	fft_rtc_back_len1089_factors_3_11_3_11_wgs_121_tpt_121_dp_op_CI_CI_unitstride_sbrr_dirReg, .Lfunc_end0-fft_rtc_back_len1089_factors_3_11_3_11_wgs_121_tpt_121_dp_op_CI_CI_unitstride_sbrr_dirReg
                                        ; -- End function
	.section	.AMDGPU.csdata,"",@progbits
; Kernel info:
; codeLenInByte = 9952
; NumSgprs: 38
; NumVgprs: 244
; ScratchSize: 0
; MemoryBound: 1
; FloatMode: 240
; IeeeMode: 1
; LDSByteSize: 0 bytes/workgroup (compile time only)
; SGPRBlocks: 4
; VGPRBlocks: 30
; NumSGPRsForWavesPerEU: 38
; NumVGPRsForWavesPerEU: 244
; Occupancy: 4
; WaveLimiterHint : 1
; COMPUTE_PGM_RSRC2:SCRATCH_EN: 0
; COMPUTE_PGM_RSRC2:USER_SGPR: 6
; COMPUTE_PGM_RSRC2:TRAP_HANDLER: 0
; COMPUTE_PGM_RSRC2:TGID_X_EN: 1
; COMPUTE_PGM_RSRC2:TGID_Y_EN: 0
; COMPUTE_PGM_RSRC2:TGID_Z_EN: 0
; COMPUTE_PGM_RSRC2:TIDIG_COMP_CNT: 0
	.text
	.p2alignl 6, 3214868480
	.fill 48, 4, 3214868480
	.type	__hip_cuid_c1161035c2dd8864,@object ; @__hip_cuid_c1161035c2dd8864
	.section	.bss,"aw",@nobits
	.globl	__hip_cuid_c1161035c2dd8864
__hip_cuid_c1161035c2dd8864:
	.byte	0                               ; 0x0
	.size	__hip_cuid_c1161035c2dd8864, 1

	.ident	"AMD clang version 19.0.0git (https://github.com/RadeonOpenCompute/llvm-project roc-6.4.0 25133 c7fe45cf4b819c5991fe208aaa96edf142730f1d)"
	.section	".note.GNU-stack","",@progbits
	.addrsig
	.addrsig_sym __hip_cuid_c1161035c2dd8864
	.amdgpu_metadata
---
amdhsa.kernels:
  - .args:
      - .actual_access:  read_only
        .address_space:  global
        .offset:         0
        .size:           8
        .value_kind:     global_buffer
      - .offset:         8
        .size:           8
        .value_kind:     by_value
      - .actual_access:  read_only
        .address_space:  global
        .offset:         16
        .size:           8
        .value_kind:     global_buffer
      - .actual_access:  read_only
        .address_space:  global
        .offset:         24
        .size:           8
        .value_kind:     global_buffer
      - .actual_access:  read_only
        .address_space:  global
        .offset:         32
        .size:           8
        .value_kind:     global_buffer
      - .offset:         40
        .size:           8
        .value_kind:     by_value
      - .actual_access:  read_only
        .address_space:  global
        .offset:         48
        .size:           8
        .value_kind:     global_buffer
      - .actual_access:  read_only
        .address_space:  global
        .offset:         56
        .size:           8
        .value_kind:     global_buffer
      - .offset:         64
        .size:           4
        .value_kind:     by_value
      - .actual_access:  read_only
        .address_space:  global
        .offset:         72
        .size:           8
        .value_kind:     global_buffer
      - .actual_access:  read_only
        .address_space:  global
        .offset:         80
        .size:           8
        .value_kind:     global_buffer
      - .actual_access:  read_only
        .address_space:  global
        .offset:         88
        .size:           8
        .value_kind:     global_buffer
      - .actual_access:  write_only
        .address_space:  global
        .offset:         96
        .size:           8
        .value_kind:     global_buffer
    .group_segment_fixed_size: 0
    .kernarg_segment_align: 8
    .kernarg_segment_size: 104
    .language:       OpenCL C
    .language_version:
      - 2
      - 0
    .max_flat_workgroup_size: 121
    .name:           fft_rtc_back_len1089_factors_3_11_3_11_wgs_121_tpt_121_dp_op_CI_CI_unitstride_sbrr_dirReg
    .private_segment_fixed_size: 0
    .sgpr_count:     38
    .sgpr_spill_count: 0
    .symbol:         fft_rtc_back_len1089_factors_3_11_3_11_wgs_121_tpt_121_dp_op_CI_CI_unitstride_sbrr_dirReg.kd
    .uniform_work_group_size: 1
    .uses_dynamic_stack: false
    .vgpr_count:     244
    .vgpr_spill_count: 0
    .wavefront_size: 32
    .workgroup_processor_mode: 1
amdhsa.target:   amdgcn-amd-amdhsa--gfx1030
amdhsa.version:
  - 1
  - 2
...

	.end_amdgpu_metadata
